;; amdgpu-corpus repo=ROCm/rocFFT kind=compiled arch=gfx906 opt=O3
	.text
	.amdgcn_target "amdgcn-amd-amdhsa--gfx906"
	.amdhsa_code_object_version 6
	.protected	fft_rtc_back_len702_factors_13_3_6_3_wgs_117_tpt_117_halfLds_dp_op_CI_CI_unitstride_sbrr_R2C_dirReg ; -- Begin function fft_rtc_back_len702_factors_13_3_6_3_wgs_117_tpt_117_halfLds_dp_op_CI_CI_unitstride_sbrr_R2C_dirReg
	.globl	fft_rtc_back_len702_factors_13_3_6_3_wgs_117_tpt_117_halfLds_dp_op_CI_CI_unitstride_sbrr_R2C_dirReg
	.p2align	8
	.type	fft_rtc_back_len702_factors_13_3_6_3_wgs_117_tpt_117_halfLds_dp_op_CI_CI_unitstride_sbrr_R2C_dirReg,@function
fft_rtc_back_len702_factors_13_3_6_3_wgs_117_tpt_117_halfLds_dp_op_CI_CI_unitstride_sbrr_R2C_dirReg: ; @fft_rtc_back_len702_factors_13_3_6_3_wgs_117_tpt_117_halfLds_dp_op_CI_CI_unitstride_sbrr_R2C_dirReg
; %bb.0:
	s_load_dwordx4 s[8:11], s[4:5], 0x58
	s_load_dwordx4 s[12:15], s[4:5], 0x0
	;; [unrolled: 1-line block ×3, first 2 shown]
	v_mul_u32_u24_e32 v1, 0x231, v0
	v_add_u32_sdwa v5, s6, v1 dst_sel:DWORD dst_unused:UNUSED_PAD src0_sel:DWORD src1_sel:WORD_1
	v_mov_b32_e32 v3, 0
	s_waitcnt lgkmcnt(0)
	v_cmp_lt_u64_e64 s[0:1], s[14:15], 2
	v_mov_b32_e32 v1, 0
	v_mov_b32_e32 v6, v3
	s_and_b64 vcc, exec, s[0:1]
	v_mov_b32_e32 v2, 0
	s_cbranch_vccnz .LBB0_8
; %bb.1:
	s_load_dwordx2 s[0:1], s[4:5], 0x10
	s_add_u32 s2, s18, 8
	s_addc_u32 s3, s19, 0
	s_add_u32 s6, s16, 8
	v_mov_b32_e32 v1, 0
	s_addc_u32 s7, s17, 0
	v_mov_b32_e32 v2, 0
	s_waitcnt lgkmcnt(0)
	s_add_u32 s20, s0, 8
	v_mov_b32_e32 v53, v2
	s_addc_u32 s21, s1, 0
	s_mov_b64 s[22:23], 1
	v_mov_b32_e32 v52, v1
.LBB0_2:                                ; =>This Inner Loop Header: Depth=1
	s_load_dwordx2 s[24:25], s[20:21], 0x0
                                        ; implicit-def: $vgpr54_vgpr55
	s_waitcnt lgkmcnt(0)
	v_or_b32_e32 v4, s25, v6
	v_cmp_ne_u64_e32 vcc, 0, v[3:4]
	s_and_saveexec_b64 s[0:1], vcc
	s_xor_b64 s[26:27], exec, s[0:1]
	s_cbranch_execz .LBB0_4
; %bb.3:                                ;   in Loop: Header=BB0_2 Depth=1
	v_cvt_f32_u32_e32 v4, s24
	v_cvt_f32_u32_e32 v7, s25
	s_sub_u32 s0, 0, s24
	s_subb_u32 s1, 0, s25
	v_mac_f32_e32 v4, 0x4f800000, v7
	v_rcp_f32_e32 v4, v4
	v_mul_f32_e32 v4, 0x5f7ffffc, v4
	v_mul_f32_e32 v7, 0x2f800000, v4
	v_trunc_f32_e32 v7, v7
	v_mac_f32_e32 v4, 0xcf800000, v7
	v_cvt_u32_f32_e32 v7, v7
	v_cvt_u32_f32_e32 v4, v4
	v_mul_lo_u32 v8, s0, v7
	v_mul_hi_u32 v9, s0, v4
	v_mul_lo_u32 v11, s1, v4
	v_mul_lo_u32 v10, s0, v4
	v_add_u32_e32 v8, v9, v8
	v_add_u32_e32 v8, v8, v11
	v_mul_hi_u32 v9, v4, v10
	v_mul_lo_u32 v11, v4, v8
	v_mul_hi_u32 v13, v4, v8
	v_mul_hi_u32 v12, v7, v10
	v_mul_lo_u32 v10, v7, v10
	v_mul_hi_u32 v14, v7, v8
	v_add_co_u32_e32 v9, vcc, v9, v11
	v_addc_co_u32_e32 v11, vcc, 0, v13, vcc
	v_mul_lo_u32 v8, v7, v8
	v_add_co_u32_e32 v9, vcc, v9, v10
	v_addc_co_u32_e32 v9, vcc, v11, v12, vcc
	v_addc_co_u32_e32 v10, vcc, 0, v14, vcc
	v_add_co_u32_e32 v8, vcc, v9, v8
	v_addc_co_u32_e32 v9, vcc, 0, v10, vcc
	v_add_co_u32_e32 v4, vcc, v4, v8
	v_addc_co_u32_e32 v7, vcc, v7, v9, vcc
	v_mul_lo_u32 v8, s0, v7
	v_mul_hi_u32 v9, s0, v4
	v_mul_lo_u32 v10, s1, v4
	v_mul_lo_u32 v11, s0, v4
	v_add_u32_e32 v8, v9, v8
	v_add_u32_e32 v8, v8, v10
	v_mul_lo_u32 v12, v4, v8
	v_mul_hi_u32 v13, v4, v11
	v_mul_hi_u32 v14, v4, v8
	v_mul_hi_u32 v10, v7, v11
	v_mul_lo_u32 v11, v7, v11
	v_mul_hi_u32 v9, v7, v8
	v_add_co_u32_e32 v12, vcc, v13, v12
	v_addc_co_u32_e32 v13, vcc, 0, v14, vcc
	v_mul_lo_u32 v8, v7, v8
	v_add_co_u32_e32 v11, vcc, v12, v11
	v_addc_co_u32_e32 v10, vcc, v13, v10, vcc
	v_addc_co_u32_e32 v9, vcc, 0, v9, vcc
	v_add_co_u32_e32 v8, vcc, v10, v8
	v_addc_co_u32_e32 v9, vcc, 0, v9, vcc
	v_add_co_u32_e32 v4, vcc, v4, v8
	v_addc_co_u32_e32 v9, vcc, v7, v9, vcc
	v_mad_u64_u32 v[7:8], s[0:1], v5, v9, 0
	v_mul_hi_u32 v10, v5, v4
	v_add_co_u32_e32 v11, vcc, v10, v7
	v_addc_co_u32_e32 v12, vcc, 0, v8, vcc
	v_mad_u64_u32 v[7:8], s[0:1], v6, v4, 0
	v_mad_u64_u32 v[9:10], s[0:1], v6, v9, 0
	v_add_co_u32_e32 v4, vcc, v11, v7
	v_addc_co_u32_e32 v4, vcc, v12, v8, vcc
	v_addc_co_u32_e32 v7, vcc, 0, v10, vcc
	v_add_co_u32_e32 v4, vcc, v4, v9
	v_addc_co_u32_e32 v9, vcc, 0, v7, vcc
	v_mul_lo_u32 v10, s25, v4
	v_mul_lo_u32 v11, s24, v9
	v_mad_u64_u32 v[7:8], s[0:1], s24, v4, 0
	v_add3_u32 v8, v8, v11, v10
	v_sub_u32_e32 v10, v6, v8
	v_mov_b32_e32 v11, s25
	v_sub_co_u32_e32 v7, vcc, v5, v7
	v_subb_co_u32_e64 v10, s[0:1], v10, v11, vcc
	v_subrev_co_u32_e64 v11, s[0:1], s24, v7
	v_subbrev_co_u32_e64 v10, s[0:1], 0, v10, s[0:1]
	v_cmp_le_u32_e64 s[0:1], s25, v10
	v_cndmask_b32_e64 v12, 0, -1, s[0:1]
	v_cmp_le_u32_e64 s[0:1], s24, v11
	v_cndmask_b32_e64 v11, 0, -1, s[0:1]
	v_cmp_eq_u32_e64 s[0:1], s25, v10
	v_cndmask_b32_e64 v10, v12, v11, s[0:1]
	v_add_co_u32_e64 v11, s[0:1], 2, v4
	v_addc_co_u32_e64 v12, s[0:1], 0, v9, s[0:1]
	v_add_co_u32_e64 v13, s[0:1], 1, v4
	v_addc_co_u32_e64 v14, s[0:1], 0, v9, s[0:1]
	v_subb_co_u32_e32 v8, vcc, v6, v8, vcc
	v_cmp_ne_u32_e64 s[0:1], 0, v10
	v_cmp_le_u32_e32 vcc, s25, v8
	v_cndmask_b32_e64 v10, v14, v12, s[0:1]
	v_cndmask_b32_e64 v12, 0, -1, vcc
	v_cmp_le_u32_e32 vcc, s24, v7
	v_cndmask_b32_e64 v7, 0, -1, vcc
	v_cmp_eq_u32_e32 vcc, s25, v8
	v_cndmask_b32_e32 v7, v12, v7, vcc
	v_cmp_ne_u32_e32 vcc, 0, v7
	v_cndmask_b32_e64 v7, v13, v11, s[0:1]
	v_cndmask_b32_e32 v55, v9, v10, vcc
	v_cndmask_b32_e32 v54, v4, v7, vcc
.LBB0_4:                                ;   in Loop: Header=BB0_2 Depth=1
	s_andn2_saveexec_b64 s[0:1], s[26:27]
	s_cbranch_execz .LBB0_6
; %bb.5:                                ;   in Loop: Header=BB0_2 Depth=1
	v_cvt_f32_u32_e32 v4, s24
	s_sub_i32 s26, 0, s24
	v_mov_b32_e32 v55, v3
	v_rcp_iflag_f32_e32 v4, v4
	v_mul_f32_e32 v4, 0x4f7ffffe, v4
	v_cvt_u32_f32_e32 v4, v4
	v_mul_lo_u32 v7, s26, v4
	v_mul_hi_u32 v7, v4, v7
	v_add_u32_e32 v4, v4, v7
	v_mul_hi_u32 v4, v5, v4
	v_mul_lo_u32 v7, v4, s24
	v_add_u32_e32 v8, 1, v4
	v_sub_u32_e32 v7, v5, v7
	v_subrev_u32_e32 v9, s24, v7
	v_cmp_le_u32_e32 vcc, s24, v7
	v_cndmask_b32_e32 v7, v7, v9, vcc
	v_cndmask_b32_e32 v4, v4, v8, vcc
	v_add_u32_e32 v8, 1, v4
	v_cmp_le_u32_e32 vcc, s24, v7
	v_cndmask_b32_e32 v54, v4, v8, vcc
.LBB0_6:                                ;   in Loop: Header=BB0_2 Depth=1
	s_or_b64 exec, exec, s[0:1]
	v_mul_lo_u32 v4, v55, s24
	v_mul_lo_u32 v9, v54, s25
	v_mad_u64_u32 v[7:8], s[0:1], v54, s24, 0
	s_load_dwordx2 s[0:1], s[6:7], 0x0
	s_load_dwordx2 s[24:25], s[2:3], 0x0
	v_add3_u32 v4, v8, v9, v4
	v_sub_co_u32_e32 v5, vcc, v5, v7
	v_subb_co_u32_e32 v4, vcc, v6, v4, vcc
	s_waitcnt lgkmcnt(0)
	v_mul_lo_u32 v6, s0, v4
	v_mul_lo_u32 v7, s1, v5
	v_mad_u64_u32 v[1:2], s[0:1], s0, v5, v[1:2]
	v_mul_lo_u32 v4, s24, v4
	v_mul_lo_u32 v8, s25, v5
	v_mad_u64_u32 v[52:53], s[0:1], s24, v5, v[52:53]
	s_add_u32 s22, s22, 1
	s_addc_u32 s23, s23, 0
	s_add_u32 s2, s2, 8
	v_add3_u32 v53, v8, v53, v4
	s_addc_u32 s3, s3, 0
	v_mov_b32_e32 v4, s14
	s_add_u32 s6, s6, 8
	v_mov_b32_e32 v5, s15
	s_addc_u32 s7, s7, 0
	v_cmp_ge_u64_e32 vcc, s[22:23], v[4:5]
	s_add_u32 s20, s20, 8
	v_add3_u32 v2, v7, v2, v6
	s_addc_u32 s21, s21, 0
	s_cbranch_vccnz .LBB0_9
; %bb.7:                                ;   in Loop: Header=BB0_2 Depth=1
	v_mov_b32_e32 v5, v54
	v_mov_b32_e32 v6, v55
	s_branch .LBB0_2
.LBB0_8:
	v_mov_b32_e32 v53, v2
	v_mov_b32_e32 v55, v6
	;; [unrolled: 1-line block ×4, first 2 shown]
.LBB0_9:
	s_load_dwordx2 s[4:5], s[4:5], 0x28
	s_lshl_b64 s[6:7], s[14:15], 3
	s_add_u32 s2, s18, s6
	s_addc_u32 s3, s19, s7
                                        ; implicit-def: $vgpr56
	s_waitcnt lgkmcnt(0)
	v_cmp_gt_u64_e64 s[0:1], s[4:5], v[54:55]
	v_cmp_le_u64_e32 vcc, s[4:5], v[54:55]
	s_and_saveexec_b64 s[4:5], vcc
	s_xor_b64 s[4:5], exec, s[4:5]
; %bb.10:
	s_mov_b32 s14, 0x2302303
	v_mul_hi_u32 v1, v0, s14
	v_mul_u32_u24_e32 v1, 0x75, v1
	v_sub_u32_e32 v56, v0, v1
                                        ; implicit-def: $vgpr0
                                        ; implicit-def: $vgpr1_vgpr2
; %bb.11:
	s_andn2_saveexec_b64 s[4:5], s[4:5]
	s_cbranch_execz .LBB0_13
; %bb.12:
	s_add_u32 s6, s16, s6
	s_addc_u32 s7, s17, s7
	s_load_dwordx2 s[6:7], s[6:7], 0x0
	s_mov_b32 s14, 0x2302303
	v_mul_hi_u32 v5, v0, s14
	s_waitcnt lgkmcnt(0)
	v_mul_lo_u32 v6, s7, v54
	v_mul_lo_u32 v7, s6, v55
	v_mad_u64_u32 v[3:4], s[6:7], s6, v54, 0
	v_mul_u32_u24_e32 v5, 0x75, v5
	v_sub_u32_e32 v56, v0, v5
	v_add3_u32 v4, v4, v7, v6
	v_lshlrev_b64 v[3:4], 4, v[3:4]
	v_mov_b32_e32 v0, s9
	v_add_co_u32_e32 v3, vcc, s8, v3
	v_addc_co_u32_e32 v4, vcc, v0, v4, vcc
	v_lshlrev_b64 v[0:1], 4, v[1:2]
	v_lshlrev_b32_e32 v28, 4, v56
	v_add_co_u32_e32 v0, vcc, v3, v0
	v_addc_co_u32_e32 v1, vcc, v4, v1, vcc
	v_add_co_u32_e32 v16, vcc, v0, v28
	v_addc_co_u32_e32 v17, vcc, 0, v1, vcc
	;; [unrolled: 2-line block ×3, first 2 shown]
	v_add_co_u32_e32 v26, vcc, 0x2000, v16
	global_load_dwordx4 v[0:3], v[16:17], off
	global_load_dwordx4 v[4:7], v[16:17], off offset:1872
	global_load_dwordx4 v[8:11], v[16:17], off offset:3744
	;; [unrolled: 1-line block ×3, first 2 shown]
	v_addc_co_u32_e32 v27, vcc, 0, v17, vcc
	global_load_dwordx4 v[16:19], v[24:25], off offset:3392
	global_load_dwordx4 v[20:23], v[26:27], off offset:1168
	v_add_u32_e32 v24, 0, v28
	s_waitcnt vmcnt(5)
	ds_write_b128 v24, v[0:3]
	s_waitcnt vmcnt(4)
	ds_write_b128 v24, v[4:7] offset:1872
	s_waitcnt vmcnt(3)
	ds_write_b128 v24, v[8:11] offset:3744
	;; [unrolled: 2-line block ×5, first 2 shown]
.LBB0_13:
	s_or_b64 exec, exec, s[4:5]
	v_lshl_add_u32 v87, v56, 4, 0
	s_waitcnt lgkmcnt(0)
	s_barrier
	ds_read_b128 v[0:3], v87
	ds_read_b128 v[32:35], v87 offset:864
	ds_read_b128 v[40:43], v87 offset:1728
	;; [unrolled: 1-line block ×12, first 2 shown]
	v_cmp_gt_u32_e32 vcc, 54, v56
	s_waitcnt lgkmcnt(0)
	s_barrier
	s_and_saveexec_b64 s[4:5], vcc
	s_cbranch_execz .LBB0_15
; %bb.14:
	v_add_f64 v[57:58], v[2:3], v[34:35]
	v_add_f64 v[67:68], v[0:1], v[32:33]
	v_add_f64 v[81:82], v[44:45], -v[24:25]
	v_add_f64 v[73:74], v[36:37], -v[28:29]
	v_add_f64 v[63:64], v[36:37], v[28:29]
	s_mov_b32 s8, 0x4bc48dbf
	s_mov_b32 s9, 0xbfcea1e5
	v_add_f64 v[61:62], v[12:13], -v[16:17]
	v_add_f64 v[69:70], v[57:58], v[42:43]
	v_add_f64 v[85:86], v[67:68], v[40:41]
	;; [unrolled: 1-line block ×5, first 2 shown]
	v_add_f64 v[71:72], v[38:39], -v[30:31]
	v_add_f64 v[83:84], v[48:49], -v[20:21]
	v_add_f64 v[77:78], v[50:51], v[22:23]
	v_add_f64 v[88:89], v[69:70], v[50:51]
	;; [unrolled: 1-line block ×3, first 2 shown]
	v_add_f64 v[85:86], v[32:33], -v[4:5]
	v_add_f64 v[75:76], v[48:49], v[20:21]
	v_add_f64 v[48:49], v[50:51], -v[22:23]
	v_add_f64 v[50:51], v[40:41], -v[8:9]
	s_mov_b32 s6, 0x93053d00
	s_mov_b32 s29, 0x3fddbe06
	v_add_f64 v[88:89], v[88:89], v[46:47]
	v_add_f64 v[44:45], v[90:91], v[44:45]
	s_mov_b32 s28, 0x4267c47c
	s_mov_b32 s7, 0xbfef11f4
	v_add_f64 v[69:70], v[46:47], v[26:27]
	v_add_f64 v[79:80], v[46:47], -v[26:27]
	v_add_f64 v[46:47], v[42:43], v[10:11]
	v_add_f64 v[42:43], v[42:43], -v[10:11]
	v_add_f64 v[88:89], v[88:89], v[38:39]
	v_add_f64 v[36:37], v[44:45], v[36:37]
	;; [unrolled: 1-line block ×3, first 2 shown]
	v_add_f64 v[34:35], v[34:35], -v[6:7]
	v_add_f64 v[32:33], v[32:33], v[4:5]
	s_mov_b32 s14, 0xe00740e9
	s_mov_b32 s18, 0x24c2f84
	;; [unrolled: 1-line block ×3, first 2 shown]
	v_add_f64 v[44:45], v[88:89], v[14:15]
	v_mul_f64 v[88:89], v[85:86], s[8:9]
	v_add_f64 v[12:13], v[36:37], v[12:13]
	v_mul_f64 v[90:91], v[34:35], s[8:9]
	s_mov_b32 s19, 0xbfe5384d
	v_add_f64 v[40:41], v[40:41], v[8:9]
	s_mov_b32 s16, 0xd0032e0c
	s_mov_b32 s40, 0x42a4c3d2
	v_add_f64 v[36:37], v[44:45], v[18:19]
	v_mul_f64 v[44:45], v[50:51], s[28:29]
	v_fma_f64 v[92:93], v[38:39], s[6:7], v[88:89]
	v_add_f64 v[12:13], v[12:13], v[16:17]
	v_fma_f64 v[96:97], v[32:33], s[6:7], -v[90:91]
	s_mov_b32 s17, 0xbfe7f3cc
	s_mov_b32 s41, 0x3fea55e2
	;; [unrolled: 1-line block ×3, first 2 shown]
	v_add_f64 v[16:17], v[36:37], v[30:31]
	v_mul_f64 v[30:31], v[42:43], s[28:29]
	v_mul_f64 v[36:37], v[83:84], s[18:19]
	v_fma_f64 v[94:95], v[46:47], s[14:15], v[44:45]
	v_add_f64 v[92:93], v[2:3], v[92:93]
	v_add_f64 v[12:13], v[12:13], v[28:29]
	v_mul_f64 v[28:29], v[48:49], s[18:19]
	s_mov_b32 s24, 0x2ef20147
	v_add_f64 v[16:17], v[16:17], v[26:27]
	v_mul_f64 v[26:27], v[81:82], s[40:41]
	v_fma_f64 v[98:99], v[40:41], s[14:15], -v[30:31]
	v_fma_f64 v[100:101], v[77:78], s[16:17], v[36:37]
	v_add_f64 v[92:93], v[94:95], v[92:93]
	v_add_f64 v[94:95], v[0:1], v[96:97]
	;; [unrolled: 1-line block ×3, first 2 shown]
	s_mov_b32 s21, 0x3fe22d96
	v_add_f64 v[16:17], v[16:17], v[22:23]
	s_mov_b32 s25, 0xbfedeba7
	v_fma_f64 v[24:25], v[69:70], s[20:21], v[26:27]
	v_fma_f64 v[96:97], v[75:76], s[16:17], -v[28:29]
	v_add_f64 v[92:93], v[100:101], v[92:93]
	v_add_f64 v[94:95], v[98:99], v[94:95]
	;; [unrolled: 1-line block ×3, first 2 shown]
	v_fma_f64 v[20:21], v[38:39], s[6:7], -v[88:89]
	v_add_f64 v[10:11], v[16:17], v[10:11]
	v_mul_f64 v[16:17], v[73:74], s[24:25]
	s_mov_b32 s22, 0xb2365da1
	s_mov_b32 s23, 0xbfd6b1d8
	v_add_f64 v[59:60], v[14:15], v[18:19]
	v_mul_f64 v[22:23], v[79:80], s[40:41]
	v_add_f64 v[24:25], v[24:25], v[92:93]
	v_add_f64 v[88:89], v[96:97], v[94:95]
	v_fma_f64 v[44:45], v[46:47], s[14:15], -v[44:45]
	v_fma_f64 v[96:97], v[65:66], s[22:23], v[16:17]
	v_add_f64 v[98:99], v[2:3], v[20:21]
	v_add_f64 v[20:21], v[14:15], -v[18:19]
	v_fma_f64 v[18:19], v[32:33], s[6:7], v[90:91]
	v_fma_f64 v[92:93], v[67:68], s[20:21], -v[22:23]
	v_mul_f64 v[94:95], v[71:72], s[24:25]
	v_add_f64 v[8:9], v[12:13], v[8:9]
	v_add_f64 v[6:7], v[10:11], v[6:7]
	;; [unrolled: 1-line block ×4, first 2 shown]
	v_fma_f64 v[24:25], v[77:78], s[16:17], -v[36:37]
	v_fma_f64 v[30:31], v[40:41], s[14:15], v[30:31]
	v_add_f64 v[18:19], v[0:1], v[18:19]
	s_mov_b32 s30, 0x66966769
	s_mov_b32 s31, 0x3fefc445
	v_add_f64 v[14:15], v[92:93], v[88:89]
	v_fma_f64 v[88:89], v[63:64], s[22:23], -v[94:95]
	v_mul_f64 v[44:45], v[20:21], s[30:31]
	v_add_f64 v[12:13], v[24:25], v[12:13]
	v_fma_f64 v[24:25], v[69:70], s[20:21], -v[26:27]
	v_add_f64 v[18:19], v[30:31], v[18:19]
	v_fma_f64 v[26:27], v[75:76], s[16:17], v[28:29]
	v_mul_f64 v[28:29], v[85:86], s[18:19]
	s_mov_b32 s26, 0xebaa3ed8
	v_mul_f64 v[36:37], v[61:62], s[30:31]
	s_mov_b32 s27, 0x3fbedb7d
	v_add_f64 v[14:15], v[88:89], v[14:15]
	v_fma_f64 v[88:89], v[57:58], s[26:27], -v[44:45]
	v_add_f64 v[12:13], v[24:25], v[12:13]
	v_fma_f64 v[16:17], v[65:66], s[22:23], -v[16:17]
	v_add_f64 v[18:19], v[26:27], v[18:19]
	v_fma_f64 v[22:23], v[67:68], s[20:21], v[22:23]
	v_fma_f64 v[24:25], v[38:39], s[16:17], v[28:29]
	v_mul_f64 v[26:27], v[50:51], s[30:31]
	v_fma_f64 v[30:31], v[59:60], s[26:27], v[36:37]
	v_mul_f64 v[90:91], v[34:35], s[18:19]
	s_mov_b32 s35, 0xbfea55e2
	s_mov_b32 s34, s40
	v_add_f64 v[4:5], v[8:9], v[4:5]
	v_add_f64 v[8:9], v[88:89], v[14:15]
	;; [unrolled: 1-line block ×4, first 2 shown]
	v_fma_f64 v[16:17], v[63:64], s[22:23], v[94:95]
	v_add_f64 v[18:19], v[2:3], v[24:25]
	v_fma_f64 v[22:23], v[46:47], s[26:27], v[26:27]
	v_mul_f64 v[88:89], v[83:84], s[34:35]
	v_add_f64 v[10:11], v[30:31], v[10:11]
	v_fma_f64 v[24:25], v[32:33], s[16:17], -v[90:91]
	v_mul_f64 v[30:31], v[42:43], s[30:31]
	v_mul_f64 v[92:93], v[48:49], s[34:35]
	v_add_f64 v[16:17], v[16:17], v[14:15]
	v_fma_f64 v[14:15], v[59:60], s[26:27], -v[36:37]
	v_fma_f64 v[36:37], v[57:58], s[26:27], v[44:45]
	v_add_f64 v[18:19], v[22:23], v[18:19]
	v_fma_f64 v[22:23], v[77:78], s[20:21], v[88:89]
	v_add_f64 v[24:25], v[0:1], v[24:25]
	v_fma_f64 v[44:45], v[40:41], s[26:27], -v[30:31]
	s_mov_b32 s43, 0x3fcea1e5
	s_mov_b32 s42, s8
	v_mul_f64 v[94:95], v[81:82], s[42:43]
	v_add_f64 v[14:15], v[14:15], v[12:13]
	v_add_f64 v[12:13], v[36:37], v[16:17]
	;; [unrolled: 1-line block ×3, first 2 shown]
	v_fma_f64 v[18:19], v[38:39], s[16:17], -v[28:29]
	v_fma_f64 v[28:29], v[32:33], s[16:17], v[90:91]
	v_add_f64 v[24:25], v[44:45], v[24:25]
	v_fma_f64 v[44:45], v[75:76], s[20:21], -v[92:93]
	v_mul_f64 v[96:97], v[79:80], s[42:43]
	v_fma_f64 v[22:23], v[69:70], s[6:7], v[94:95]
	v_mul_f64 v[36:37], v[73:74], s[28:29]
	v_fma_f64 v[26:27], v[46:47], s[26:27], -v[26:27]
	v_add_f64 v[18:19], v[2:3], v[18:19]
	v_fma_f64 v[30:31], v[40:41], s[26:27], v[30:31]
	v_add_f64 v[28:29], v[0:1], v[28:29]
	v_add_f64 v[24:25], v[44:45], v[24:25]
	v_fma_f64 v[44:45], v[67:68], s[6:7], -v[96:97]
	v_mul_f64 v[90:91], v[71:72], s[28:29]
	v_add_f64 v[16:17], v[22:23], v[16:17]
	v_fma_f64 v[22:23], v[65:66], s[14:15], v[36:37]
	v_add_f64 v[18:19], v[26:27], v[18:19]
	v_fma_f64 v[26:27], v[77:78], s[20:21], -v[88:89]
	v_add_f64 v[28:29], v[30:31], v[28:29]
	v_fma_f64 v[30:31], v[75:76], s[20:21], v[92:93]
	v_mul_f64 v[88:89], v[85:86], s[24:25]
	v_add_f64 v[24:25], v[44:45], v[24:25]
	v_fma_f64 v[44:45], v[63:64], s[14:15], -v[90:91]
	v_mul_f64 v[98:99], v[61:62], s[24:25]
	s_mov_b32 s39, 0x3fe5384d
	s_mov_b32 s38, s18
	v_add_f64 v[16:17], v[22:23], v[16:17]
	v_mul_f64 v[22:23], v[20:21], s[24:25]
	v_add_f64 v[18:19], v[26:27], v[18:19]
	v_fma_f64 v[26:27], v[69:70], s[6:7], -v[94:95]
	v_add_f64 v[28:29], v[30:31], v[28:29]
	v_fma_f64 v[30:31], v[67:68], s[6:7], v[96:97]
	v_fma_f64 v[94:95], v[38:39], s[22:23], v[88:89]
	v_mul_f64 v[96:97], v[50:51], s[38:39]
	v_add_f64 v[24:25], v[44:45], v[24:25]
	v_fma_f64 v[44:45], v[59:60], s[22:23], v[98:99]
	v_fma_f64 v[92:93], v[57:58], s[22:23], -v[22:23]
	v_add_f64 v[26:27], v[26:27], v[18:19]
	v_fma_f64 v[36:37], v[65:66], s[14:15], -v[36:37]
	v_add_f64 v[28:29], v[30:31], v[28:29]
	v_fma_f64 v[30:31], v[63:64], s[14:15], v[90:91]
	v_add_f64 v[90:91], v[2:3], v[94:95]
	v_fma_f64 v[94:95], v[46:47], s[16:17], v[96:97]
	v_mul_f64 v[100:101], v[83:84], s[28:29]
	v_add_f64 v[18:19], v[44:45], v[16:17]
	v_mul_f64 v[44:45], v[34:35], s[24:25]
	s_mov_b32 s37, 0xbfefc445
	s_mov_b32 s36, s30
	v_add_f64 v[16:17], v[92:93], v[24:25]
	v_add_f64 v[24:25], v[36:37], v[26:27]
	;; [unrolled: 1-line block ×3, first 2 shown]
	v_fma_f64 v[28:29], v[59:60], s[22:23], -v[98:99]
	v_add_f64 v[90:91], v[94:95], v[90:91]
	v_fma_f64 v[92:93], v[77:78], s[14:15], v[100:101]
	v_mul_f64 v[94:95], v[81:82], s[36:37]
	v_fma_f64 v[30:31], v[32:33], s[22:23], -v[44:45]
	v_mul_f64 v[36:37], v[42:43], s[38:39]
	v_fma_f64 v[88:89], v[38:39], s[22:23], -v[88:89]
	v_fma_f64 v[44:45], v[32:33], s[22:23], v[44:45]
	v_add_f64 v[24:25], v[28:29], v[24:25]
	v_mul_f64 v[102:103], v[48:49], s[28:29]
	v_add_f64 v[28:29], v[92:93], v[90:91]
	v_fma_f64 v[90:91], v[69:70], s[26:27], v[94:95]
	v_mul_f64 v[92:93], v[73:74], s[42:43]
	v_add_f64 v[30:31], v[0:1], v[30:31]
	v_fma_f64 v[98:99], v[40:41], s[16:17], -v[36:37]
	v_fma_f64 v[22:23], v[57:58], s[22:23], v[22:23]
	v_fma_f64 v[96:97], v[46:47], s[16:17], -v[96:97]
	v_add_f64 v[88:89], v[2:3], v[88:89]
	v_fma_f64 v[36:37], v[40:41], s[16:17], v[36:37]
	v_add_f64 v[44:45], v[0:1], v[44:45]
	v_add_f64 v[28:29], v[90:91], v[28:29]
	v_fma_f64 v[90:91], v[65:66], s[6:7], v[92:93]
	v_add_f64 v[30:31], v[98:99], v[30:31]
	v_fma_f64 v[98:99], v[75:76], s[14:15], -v[102:103]
	v_mul_f64 v[104:105], v[79:80], s[36:37]
	v_add_f64 v[22:23], v[22:23], v[26:27]
	v_add_f64 v[26:27], v[96:97], v[88:89]
	v_fma_f64 v[88:89], v[77:78], s[14:15], -v[100:101]
	v_add_f64 v[36:37], v[36:37], v[44:45]
	v_fma_f64 v[44:45], v[75:76], s[14:15], v[102:103]
	v_add_f64 v[28:29], v[90:91], v[28:29]
	v_mul_f64 v[90:91], v[85:86], s[36:37]
	v_add_f64 v[30:31], v[98:99], v[30:31]
	v_fma_f64 v[98:99], v[67:68], s[26:27], -v[104:105]
	v_mul_f64 v[100:101], v[50:51], s[8:9]
	v_add_f64 v[26:27], v[88:89], v[26:27]
	v_fma_f64 v[88:89], v[69:70], s[26:27], -v[94:95]
	v_add_f64 v[36:37], v[44:45], v[36:37]
	v_fma_f64 v[44:45], v[67:68], s[26:27], v[104:105]
	v_fma_f64 v[94:95], v[38:39], s[26:27], v[90:91]
	v_mul_f64 v[106:107], v[20:21], s[40:41]
	v_add_f64 v[30:31], v[98:99], v[30:31]
	v_mul_f64 v[98:99], v[61:62], s[40:41]
	s_mov_b32 s41, 0x3fedeba7
	s_mov_b32 s40, s24
	v_mul_f64 v[96:97], v[71:72], s[42:43]
	v_add_f64 v[26:27], v[88:89], v[26:27]
	v_fma_f64 v[88:89], v[65:66], s[6:7], -v[92:93]
	v_add_f64 v[36:37], v[44:45], v[36:37]
	v_add_f64 v[44:45], v[2:3], v[94:95]
	v_fma_f64 v[92:93], v[46:47], s[6:7], v[100:101]
	v_mul_f64 v[94:95], v[83:84], s[40:41]
	v_mul_f64 v[108:109], v[34:35], s[36:37]
	v_fma_f64 v[102:103], v[63:64], s[6:7], -v[96:97]
	v_fma_f64 v[96:97], v[63:64], s[6:7], v[96:97]
	v_add_f64 v[88:89], v[88:89], v[26:27]
	v_fma_f64 v[104:105], v[59:60], s[20:21], v[98:99]
	v_fma_f64 v[90:91], v[38:39], s[26:27], -v[90:91]
	v_add_f64 v[26:27], v[92:93], v[44:45]
	v_fma_f64 v[44:45], v[77:78], s[22:23], v[94:95]
	v_fma_f64 v[92:93], v[32:33], s[26:27], -v[108:109]
	v_mul_f64 v[110:111], v[48:49], s[40:41]
	v_add_f64 v[36:37], v[96:97], v[36:37]
	v_mul_f64 v[96:97], v[42:43], s[8:9]
	v_add_f64 v[28:29], v[104:105], v[28:29]
	v_mul_f64 v[104:105], v[81:82], s[28:29]
	v_fma_f64 v[100:101], v[46:47], s[6:7], -v[100:101]
	v_add_f64 v[26:27], v[44:45], v[26:27]
	v_fma_f64 v[44:45], v[32:33], s[26:27], v[108:109]
	v_add_f64 v[92:93], v[0:1], v[92:93]
	v_add_f64 v[90:91], v[2:3], v[90:91]
	v_fma_f64 v[108:109], v[40:41], s[6:7], -v[96:97]
	v_fma_f64 v[96:97], v[40:41], s[6:7], v[96:97]
	v_fma_f64 v[112:113], v[69:70], s[14:15], v[104:105]
	v_mul_f64 v[114:115], v[73:74], s[34:35]
	v_mul_f64 v[116:117], v[79:80], s[28:29]
	v_add_f64 v[44:45], v[0:1], v[44:45]
	v_fma_f64 v[94:95], v[77:78], s[22:23], -v[94:95]
	v_add_f64 v[90:91], v[100:101], v[90:91]
	v_add_f64 v[92:93], v[108:109], v[92:93]
	v_fma_f64 v[108:109], v[75:76], s[22:23], -v[110:111]
	v_add_f64 v[26:27], v[112:113], v[26:27]
	v_fma_f64 v[100:101], v[65:66], s[20:21], v[114:115]
	v_mul_f64 v[112:113], v[61:62], s[18:19]
	v_add_f64 v[44:45], v[96:97], v[44:45]
	v_fma_f64 v[96:97], v[75:76], s[22:23], v[110:111]
	v_mul_f64 v[110:111], v[71:72], s[34:35]
	v_add_f64 v[90:91], v[94:95], v[90:91]
	v_add_f64 v[92:93], v[108:109], v[92:93]
	v_fma_f64 v[108:109], v[67:68], s[14:15], -v[116:117]
	v_fma_f64 v[94:95], v[69:70], s[14:15], -v[104:105]
	v_add_f64 v[30:31], v[102:103], v[30:31]
	v_fma_f64 v[102:103], v[57:58], s[20:21], -v[106:107]
	v_add_f64 v[44:45], v[96:97], v[44:45]
	v_fma_f64 v[96:97], v[67:68], s[14:15], v[116:117]
	v_fma_f64 v[98:99], v[59:60], s[20:21], -v[98:99]
	v_fma_f64 v[106:107], v[57:58], s[20:21], v[106:107]
	v_add_f64 v[100:101], v[100:101], v[26:27]
	v_add_f64 v[92:93], v[108:109], v[92:93]
	v_fma_f64 v[104:105], v[63:64], s[20:21], -v[110:111]
	v_fma_f64 v[108:109], v[59:60], s[16:17], v[112:113]
	v_mul_f64 v[116:117], v[20:21], s[18:19]
	v_add_f64 v[118:119], v[94:95], v[90:91]
	v_fma_f64 v[114:115], v[65:66], s[20:21], -v[114:115]
	v_add_f64 v[44:45], v[96:97], v[44:45]
	v_fma_f64 v[96:97], v[63:64], s[20:21], v[110:111]
	v_add_f64 v[26:27], v[102:103], v[30:31]
	v_add_f64 v[90:91], v[98:99], v[88:89]
	;; [unrolled: 1-line block ×5, first 2 shown]
	v_fma_f64 v[36:37], v[57:58], s[16:17], -v[116:117]
	v_add_f64 v[98:99], v[114:115], v[118:119]
	v_add_f64 v[44:45], v[96:97], v[44:45]
	v_fma_f64 v[96:97], v[59:60], s[16:17], -v[112:113]
	v_fma_f64 v[100:101], v[57:58], s[16:17], v[116:117]
	v_mul_f64 v[104:105], v[85:86], s[34:35]
	v_mul_f64 v[102:103], v[61:62], s[28:29]
	v_mul_f64 v[106:107], v[20:21], s[28:29]
	s_mov_b32 s29, 0xbfddbe06
	v_mul_f64 v[85:86], v[85:86], s[28:29]
	v_mul_f64 v[108:109], v[34:35], s[34:35]
	v_add_f64 v[92:93], v[36:37], v[30:31]
	v_add_f64 v[98:99], v[96:97], v[98:99]
	;; [unrolled: 1-line block ×3, first 2 shown]
	v_fma_f64 v[30:31], v[38:39], s[20:21], v[104:105]
	v_mul_f64 v[44:45], v[50:51], s[24:25]
	v_fma_f64 v[36:37], v[38:39], s[20:21], -v[104:105]
	v_fma_f64 v[100:101], v[38:39], s[14:15], v[85:86]
	v_fma_f64 v[104:105], v[32:33], s[20:21], -v[108:109]
	v_fma_f64 v[38:39], v[38:39], s[14:15], -v[85:86]
	v_mul_f64 v[34:35], v[34:35], s[28:29]
	v_fma_f64 v[85:86], v[32:33], s[20:21], v[108:109]
	v_add_f64 v[30:31], v[2:3], v[30:31]
	v_fma_f64 v[108:109], v[46:47], s[22:23], v[44:45]
	v_mul_f64 v[112:113], v[83:84], s[8:9]
	v_mul_f64 v[110:111], v[42:43], s[24:25]
	v_add_f64 v[104:105], v[0:1], v[104:105]
	v_mul_f64 v[116:117], v[48:49], s[8:9]
	v_fma_f64 v[118:119], v[32:33], s[14:15], -v[34:35]
	v_fma_f64 v[32:33], v[32:33], s[14:15], v[34:35]
	v_add_f64 v[34:35], v[2:3], v[36:37]
	v_add_f64 v[30:31], v[108:109], v[30:31]
	v_fma_f64 v[36:37], v[77:78], s[6:7], v[112:113]
	v_mul_f64 v[108:109], v[81:82], s[38:39]
	v_fma_f64 v[114:115], v[40:41], s[22:23], -v[110:111]
	v_mul_f64 v[122:123], v[73:74], s[30:31]
	v_mul_f64 v[120:121], v[79:80], s[38:39]
	;; [unrolled: 1-line block ×3, first 2 shown]
	v_add_f64 v[85:86], v[0:1], v[85:86]
	v_add_f64 v[118:119], v[0:1], v[118:119]
	v_add_f64 v[30:31], v[36:37], v[30:31]
	v_fma_f64 v[36:37], v[69:70], s[16:17], v[108:109]
	v_add_f64 v[104:105], v[114:115], v[104:105]
	v_fma_f64 v[114:115], v[75:76], s[6:7], -v[116:117]
	v_add_f64 v[0:1], v[0:1], v[32:33]
	v_fma_f64 v[32:33], v[40:41], s[22:23], v[110:111]
	v_add_f64 v[100:101], v[2:3], v[100:101]
	v_mul_f64 v[124:125], v[71:72], s[30:31]
	v_add_f64 v[2:3], v[2:3], v[38:39]
	v_add_f64 v[30:31], v[36:37], v[30:31]
	v_fma_f64 v[36:37], v[65:66], s[26:27], v[122:123]
	v_add_f64 v[104:105], v[114:115], v[104:105]
	v_fma_f64 v[114:115], v[67:68], s[16:17], -v[120:121]
	v_fma_f64 v[38:39], v[46:47], s[22:23], -v[44:45]
	v_mul_f64 v[83:84], v[83:84], s[36:37]
	v_add_f64 v[32:33], v[32:33], v[85:86]
	v_fma_f64 v[85:86], v[75:76], s[6:7], v[116:117]
	v_mul_f64 v[42:43], v[42:43], s[34:35]
	v_add_f64 v[30:31], v[36:37], v[30:31]
	v_fma_f64 v[36:37], v[46:47], s[20:21], -v[50:51]
	v_add_f64 v[44:45], v[114:115], v[104:105]
	v_fma_f64 v[104:105], v[63:64], s[26:27], -v[124:125]
	;; [unrolled: 2-line block ×3, first 2 shown]
	v_mul_f64 v[81:82], v[81:82], s[24:25]
	v_add_f64 v[32:33], v[85:86], v[32:33]
	v_fma_f64 v[85:86], v[40:41], s[20:21], v[42:43]
	v_add_f64 v[2:3], v[36:37], v[2:3]
	v_fma_f64 v[36:37], v[77:78], s[26:27], -v[83:84]
	v_mul_f64 v[48:49], v[48:49], s[36:37]
	v_add_f64 v[44:45], v[104:105], v[44:45]
	v_add_f64 v[34:35], v[38:39], v[34:35]
	v_fma_f64 v[38:39], v[69:70], s[16:17], -v[108:109]
	v_fma_f64 v[104:105], v[67:68], s[16:17], v[120:121]
	v_fma_f64 v[46:47], v[46:47], s[20:21], v[50:51]
	v_fma_f64 v[40:41], v[40:41], s[20:21], -v[42:43]
	v_add_f64 v[2:3], v[36:37], v[2:3]
	v_fma_f64 v[36:37], v[69:70], s[22:23], -v[81:82]
	v_add_f64 v[0:1], v[85:86], v[0:1]
	v_fma_f64 v[85:86], v[75:76], s[26:27], v[48:49]
	v_mul_f64 v[79:80], v[79:80], s[24:25]
	v_mul_f64 v[50:51], v[73:74], s[18:19]
	v_add_f64 v[34:35], v[38:39], v[34:35]
	v_fma_f64 v[38:39], v[65:66], s[26:27], -v[122:123]
	v_add_f64 v[32:33], v[104:105], v[32:33]
	v_fma_f64 v[104:105], v[63:64], s[26:27], v[124:125]
	v_add_f64 v[2:3], v[36:37], v[2:3]
	v_fma_f64 v[36:37], v[77:78], s[26:27], v[83:84]
	v_add_f64 v[46:47], v[46:47], v[100:101]
	v_fma_f64 v[48:49], v[75:76], s[26:27], -v[48:49]
	v_add_f64 v[40:41], v[40:41], v[118:119]
	v_add_f64 v[0:1], v[85:86], v[0:1]
	v_fma_f64 v[42:43], v[67:68], s[22:23], v[79:80]
	v_mul_f64 v[71:72], v[71:72], s[18:19]
	v_fma_f64 v[73:74], v[65:66], s[16:17], -v[50:51]
	v_add_f64 v[34:35], v[38:39], v[34:35]
	v_fma_f64 v[38:39], v[69:70], s[22:23], v[81:82]
	v_add_f64 v[36:37], v[36:37], v[46:47]
	v_add_f64 v[46:47], v[104:105], v[32:33]
	v_fma_f64 v[32:33], v[67:68], s[22:23], -v[79:80]
	v_add_f64 v[40:41], v[48:49], v[40:41]
	v_add_f64 v[0:1], v[42:43], v[0:1]
	v_fma_f64 v[42:43], v[63:64], s[16:17], v[71:72]
	v_add_f64 v[48:49], v[73:74], v[2:3]
	v_mul_f64 v[2:3], v[61:62], s[8:9]
	v_mul_f64 v[20:21], v[20:21], s[8:9]
	v_add_f64 v[36:37], v[38:39], v[36:37]
	v_fma_f64 v[38:39], v[63:64], s[16:17], -v[71:72]
	v_add_f64 v[32:33], v[32:33], v[40:41]
	v_fma_f64 v[40:41], v[59:60], s[14:15], v[102:103]
	v_add_f64 v[0:1], v[42:43], v[0:1]
	v_fma_f64 v[42:43], v[65:66], s[16:17], v[50:51]
	v_fma_f64 v[50:51], v[59:60], s[14:15], -v[102:103]
	v_fma_f64 v[61:62], v[59:60], s[6:7], -v[2:3]
	v_fma_f64 v[63:64], v[57:58], s[6:7], v[20:21]
	v_fma_f64 v[65:66], v[57:58], s[14:15], v[106:107]
	v_fma_f64 v[20:21], v[57:58], s[6:7], -v[20:21]
	v_add_f64 v[38:39], v[38:39], v[32:33]
	v_fma_f64 v[59:60], v[59:60], s[6:7], v[2:3]
	v_add_f64 v[42:43], v[42:43], v[36:37]
	v_fma_f64 v[67:68], v[57:58], s[14:15], -v[106:107]
	v_add_f64 v[32:33], v[50:51], v[34:35]
	v_add_f64 v[36:37], v[61:62], v[48:49]
	;; [unrolled: 1-line block ×5, first 2 shown]
	s_movk_i32 s6, 0xc0
	v_add_f64 v[38:39], v[20:21], v[38:39]
	v_mad_u32_u24 v20, v56, s6, v87
	v_add_f64 v[0:1], v[67:68], v[44:45]
	v_add_f64 v[40:41], v[59:60], v[42:43]
	ds_write_b128 v20, v[4:7]
	ds_write_b128 v20, v[34:37] offset:16
	ds_write_b128 v20, v[30:33] offset:32
	;; [unrolled: 1-line block ×12, first 2 shown]
.LBB0_15:
	s_or_b64 exec, exec, s[4:5]
	s_movk_i32 s4, 0x4f
	v_mul_lo_u16_sdwa v1, v56, s4 dst_sel:DWORD dst_unused:UNUSED_PAD src0_sel:BYTE_0 src1_sel:DWORD
	v_lshrrev_b16_e32 v41, 10, v1
	v_mul_lo_u16_e32 v1, 13, v41
	v_sub_u16_e32 v42, v56, v1
	v_mov_b32_e32 v49, 5
	v_add_u32_e32 v0, 0x75, v56
	v_lshlrev_b32_sdwa v9, v49, v42 dst_sel:DWORD dst_unused:UNUSED_PAD src0_sel:DWORD src1_sel:BYTE_0
	s_load_dwordx2 s[2:3], s[2:3], 0x0
	s_waitcnt lgkmcnt(0)
	s_barrier
	global_load_dwordx4 v[1:4], v9, s[12:13] offset:16
	global_load_dwordx4 v[5:8], v9, s[12:13]
	v_mul_lo_u16_sdwa v9, v0, s4 dst_sel:DWORD dst_unused:UNUSED_PAD src0_sel:BYTE_0 src1_sel:DWORD
	v_lshrrev_b16_e32 v43, 10, v9
	v_mul_lo_u16_e32 v9, 13, v43
	v_sub_u16_e32 v44, v0, v9
	v_lshlrev_b32_sdwa v17, v49, v44 dst_sel:DWORD dst_unused:UNUSED_PAD src0_sel:DWORD src1_sel:BYTE_0
	global_load_dwordx4 v[9:12], v17, s[12:13]
	global_load_dwordx4 v[13:16], v17, s[12:13] offset:16
	s_movk_i32 s8, 0xa5
	v_mul_lo_u16_sdwa v45, v56, s8 dst_sel:DWORD dst_unused:UNUSED_PAD src0_sel:BYTE_0 src1_sel:DWORD
	v_sub_u16_sdwa v46, v56, v45 dst_sel:DWORD dst_unused:UNUSED_PAD src0_sel:DWORD src1_sel:BYTE_1
	ds_read_b128 v[17:20], v87
	ds_read_b128 v[21:24], v87 offset:1872
	ds_read_b128 v[25:28], v87 offset:3744
	ds_read_b128 v[29:32], v87 offset:5616
	ds_read_b128 v[33:36], v87 offset:7488
	ds_read_b128 v[37:40], v87 offset:9360
	v_lshrrev_b16_e32 v46, 1, v46
	v_mov_b32_e32 v50, 4
	v_and_b32_e32 v46, 0x7f, v46
	v_mul_u32_u24_e32 v41, 0x270, v41
	v_lshlrev_b32_sdwa v42, v50, v42 dst_sel:DWORD dst_unused:UNUSED_PAD src0_sel:DWORD src1_sel:BYTE_0
	v_add_u16_sdwa v45, v46, v45 dst_sel:DWORD dst_unused:UNUSED_PAD src0_sel:DWORD src1_sel:BYTE_1
	v_mul_u32_u24_e32 v43, 0x270, v43
	v_lshlrev_b32_sdwa v44, v50, v44 dst_sel:DWORD dst_unused:UNUSED_PAD src0_sel:DWORD src1_sel:BYTE_0
	v_add3_u32 v51, 0, v41, v42
	v_lshrrev_b16_e32 v41, 5, v45
	v_add3_u32 v57, 0, v43, v44
	v_and_b32_e32 v58, 7, v41
	s_mov_b32 s4, 0xe8584caa
	s_mov_b32 s5, 0xbfebb67a
	;; [unrolled: 1-line block ×4, first 2 shown]
	v_mul_lo_u16_e32 v59, 39, v58
	s_waitcnt vmcnt(0) lgkmcnt(0)
	s_barrier
	s_movk_i32 s8, 0xea0
	v_mul_f64 v[43:44], v[35:36], v[3:4]
	v_mul_f64 v[41:42], v[27:28], v[7:8]
	;; [unrolled: 1-line block ×8, first 2 shown]
	v_fma_f64 v[25:26], v[25:26], v[5:6], v[41:42]
	v_fma_f64 v[5:6], v[27:28], v[5:6], -v[7:8]
	v_fma_f64 v[7:8], v[33:34], v[1:2], v[43:44]
	v_fma_f64 v[3:4], v[35:36], v[1:2], -v[3:4]
	;; [unrolled: 2-line block ×4, first 2 shown]
	v_add_f64 v[15:16], v[17:18], v[25:26]
	v_add_f64 v[31:32], v[19:20], v[5:6]
	;; [unrolled: 1-line block ×3, first 2 shown]
	v_add_f64 v[29:30], v[5:6], -v[3:4]
	v_add_f64 v[5:6], v[5:6], v[3:4]
	v_add_f64 v[39:40], v[23:24], v[9:10]
	;; [unrolled: 1-line block ×3, first 2 shown]
	v_add_f64 v[37:38], v[9:10], -v[13:14]
	v_add_f64 v[9:10], v[9:10], v[13:14]
	v_add_f64 v[25:26], v[25:26], -v[7:8]
	v_add_f64 v[33:34], v[21:22], v[1:2]
	v_add_f64 v[41:42], v[1:2], -v[11:12]
	v_fma_f64 v[17:18], v[27:28], -0.5, v[17:18]
	v_add_f64 v[1:2], v[15:16], v[7:8]
	v_fma_f64 v[15:16], v[5:6], -0.5, v[19:20]
	v_fma_f64 v[19:20], v[35:36], -0.5, v[21:22]
	;; [unrolled: 1-line block ×3, first 2 shown]
	v_add_f64 v[3:4], v[31:32], v[3:4]
	v_add_f64 v[5:6], v[33:34], v[11:12]
	;; [unrolled: 1-line block ×3, first 2 shown]
	v_fma_f64 v[9:10], v[29:30], s[4:5], v[17:18]
	v_fma_f64 v[13:14], v[29:30], s[6:7], v[17:18]
	;; [unrolled: 1-line block ×7, first 2 shown]
	v_sub_u16_e32 v43, v56, v59
	v_fma_f64 v[23:24], v[41:42], s[4:5], v[23:24]
	v_mul_u32_u24_sdwa v25, v43, v49 dst_sel:DWORD dst_unused:UNUSED_PAD src0_sel:BYTE_0 src1_sel:DWORD
	v_lshlrev_b32_e32 v25, 4, v25
	ds_write_b128 v51, v[1:4]
	ds_write_b128 v51, v[9:12] offset:208
	ds_write_b128 v51, v[13:16] offset:416
	ds_write_b128 v57, v[5:8]
	ds_write_b128 v57, v[17:20] offset:208
	ds_write_b128 v57, v[21:24] offset:416
	s_waitcnt lgkmcnt(0)
	s_barrier
	global_load_dwordx4 v[3:6], v25, s[12:13] offset:416
	global_load_dwordx4 v[7:10], v25, s[12:13] offset:432
	;; [unrolled: 1-line block ×5, first 2 shown]
	v_lshlrev_b32_e32 v1, 1, v56
	v_mov_b32_e32 v2, 0
	v_lshlrev_b64 v[23:24], 4, v[1:2]
	v_mov_b32_e32 v51, s13
	v_add_co_u32_e32 v47, vcc, s12, v23
	v_addc_co_u32_e32 v48, vcc, v51, v24, vcc
	v_mul_u32_u24_sdwa v23, v58, s8 dst_sel:DWORD dst_unused:UNUSED_PAD src0_sel:WORD_0 src1_sel:DWORD
	v_lshlrev_b32_sdwa v24, v50, v43 dst_sel:DWORD dst_unused:UNUSED_PAD src0_sel:DWORD src1_sel:BYTE_0
	v_add3_u32 v65, 0, v23, v24
	ds_read_b128 v[23:26], v87
	ds_read_b128 v[27:30], v87 offset:1872
	ds_read_b128 v[31:34], v87 offset:3744
	ds_read_b128 v[35:38], v87 offset:5616
	ds_read_b128 v[39:42], v87 offset:7488
	ds_read_b128 v[43:46], v87 offset:9360
	v_lshlrev_b32_e32 v1, 1, v0
	v_lshlrev_b64 v[0:1], 4, v[1:2]
	s_waitcnt vmcnt(0) lgkmcnt(0)
	s_barrier
	v_add_co_u32_e32 v0, vcc, s12, v0
	v_addc_co_u32_e32 v1, vcc, v51, v1, vcc
	s_add_u32 s8, s12, 0x2b10
	v_cmp_ne_u32_e32 vcc, 0, v56
	v_mul_f64 v[49:50], v[29:30], v[5:6]
	v_mul_f64 v[5:6], v[27:28], v[5:6]
	;; [unrolled: 1-line block ×10, first 2 shown]
	v_fma_f64 v[37:38], v[37:38], v[11:12], -v[59:60]
	v_fma_f64 v[45:46], v[45:46], v[15:16], -v[61:62]
	v_fma_f64 v[31:32], v[31:32], v[7:8], v[57:58]
	v_fma_f64 v[7:8], v[33:34], v[7:8], -v[9:10]
	v_fma_f64 v[9:10], v[39:40], v[19:20], v[63:64]
	v_fma_f64 v[19:20], v[41:42], v[19:20], -v[21:22]
	v_fma_f64 v[21:22], v[27:28], v[3:4], v[49:50]
	v_fma_f64 v[11:12], v[35:36], v[11:12], v[13:14]
	v_fma_f64 v[13:14], v[43:44], v[15:16], v[17:18]
	v_fma_f64 v[3:4], v[29:30], v[3:4], -v[5:6]
	v_add_f64 v[5:6], v[37:38], v[45:46]
	v_add_f64 v[15:16], v[23:24], v[31:32]
	v_add_f64 v[17:18], v[31:32], v[9:10]
	v_add_f64 v[27:28], v[7:8], -v[19:20]
	v_add_f64 v[29:30], v[25:26], v[7:8]
	v_add_f64 v[7:8], v[7:8], v[19:20]
	v_add_f64 v[33:34], v[11:12], v[13:14]
	v_add_f64 v[35:36], v[11:12], -v[13:14]
	v_fma_f64 v[5:6], v[5:6], -0.5, v[3:4]
	v_add_f64 v[31:32], v[31:32], -v[9:10]
	v_add_f64 v[11:12], v[21:22], v[11:12]
	v_add_f64 v[39:40], v[37:38], -v[45:46]
	v_add_f64 v[3:4], v[3:4], v[37:38]
	v_add_f64 v[9:10], v[15:16], v[9:10]
	v_fma_f64 v[15:16], v[33:34], -0.5, v[21:22]
	v_fma_f64 v[17:18], v[17:18], -0.5, v[23:24]
	v_fma_f64 v[21:22], v[35:36], s[6:7], v[5:6]
	v_fma_f64 v[5:6], v[35:36], s[4:5], v[5:6]
	v_fma_f64 v[7:8], v[7:8], -0.5, v[25:26]
	v_add_f64 v[11:12], v[11:12], v[13:14]
	v_add_f64 v[13:14], v[3:4], v[45:46]
	;; [unrolled: 1-line block ×3, first 2 shown]
	v_fma_f64 v[3:4], v[39:40], s[4:5], v[15:16]
	v_fma_f64 v[15:16], v[39:40], s[6:7], v[15:16]
	v_mul_f64 v[23:24], v[21:22], s[4:5]
	v_mul_f64 v[21:22], v[21:22], 0.5
	v_mul_f64 v[25:26], v[5:6], s[4:5]
	v_mul_f64 v[5:6], v[5:6], -0.5
	v_fma_f64 v[29:30], v[27:28], s[4:5], v[17:18]
	v_fma_f64 v[33:34], v[31:32], s[6:7], v[7:8]
	v_fma_f64 v[27:28], v[27:28], s[6:7], v[17:18]
	v_fma_f64 v[31:32], v[31:32], s[4:5], v[7:8]
	v_fma_f64 v[23:24], v[3:4], 0.5, v[23:24]
	v_fma_f64 v[21:22], v[3:4], s[6:7], v[21:22]
	v_fma_f64 v[25:26], v[15:16], -0.5, v[25:26]
	v_fma_f64 v[35:36], v[15:16], s[6:7], v[5:6]
	v_add_f64 v[3:4], v[9:10], v[11:12]
	v_add_f64 v[5:6], v[19:20], v[13:14]
	v_add_f64 v[7:8], v[9:10], -v[11:12]
	v_add_f64 v[9:10], v[19:20], -v[13:14]
	v_add_f64 v[11:12], v[29:30], v[23:24]
	v_add_f64 v[13:14], v[33:34], v[21:22]
	;; [unrolled: 1-line block ×4, first 2 shown]
	v_add_f64 v[19:20], v[29:30], -v[23:24]
	v_add_f64 v[21:22], v[33:34], -v[21:22]
	;; [unrolled: 1-line block ×4, first 2 shown]
	ds_write_b128 v65, v[3:6]
	ds_write_b128 v65, v[7:10] offset:1872
	ds_write_b128 v65, v[11:14] offset:624
	;; [unrolled: 1-line block ×5, first 2 shown]
	s_waitcnt lgkmcnt(0)
	s_barrier
	global_load_dwordx4 v[3:6], v[47:48], off offset:3552
	global_load_dwordx4 v[7:10], v[47:48], off offset:3536
	;; [unrolled: 1-line block ×4, first 2 shown]
	ds_read_b128 v[19:22], v87 offset:3744
	ds_read_b128 v[23:26], v87 offset:7488
	ds_read_b128 v[27:30], v87
	ds_read_b128 v[31:34], v87 offset:1872
	ds_read_b128 v[35:38], v87 offset:5616
	ds_read_b128 v[39:42], v87 offset:9360
	s_waitcnt vmcnt(0) lgkmcnt(0)
	s_barrier
	v_mul_f64 v[43:44], v[25:26], v[5:6]
	v_mul_f64 v[0:1], v[21:22], v[9:10]
	;; [unrolled: 1-line block ×8, first 2 shown]
	v_fma_f64 v[0:1], v[19:20], v[7:8], v[0:1]
	v_fma_f64 v[7:8], v[21:22], v[7:8], -v[9:10]
	v_fma_f64 v[9:10], v[23:24], v[3:4], v[43:44]
	v_fma_f64 v[5:6], v[25:26], v[3:4], -v[5:6]
	;; [unrolled: 2-line block ×4, first 2 shown]
	v_add_f64 v[17:18], v[27:28], v[0:1]
	v_add_f64 v[23:24], v[29:30], v[7:8]
	;; [unrolled: 1-line block ×3, first 2 shown]
	v_add_f64 v[21:22], v[7:8], -v[5:6]
	v_add_f64 v[7:8], v[7:8], v[5:6]
	v_add_f64 v[25:26], v[31:32], v[3:4]
	;; [unrolled: 1-line block ×3, first 2 shown]
	v_add_f64 v[37:38], v[11:12], -v[15:16]
	v_add_f64 v[39:40], v[33:34], v[11:12]
	v_add_f64 v[11:12], v[11:12], v[15:16]
	v_add_f64 v[0:1], v[0:1], -v[9:10]
	v_add_f64 v[41:42], v[3:4], -v[13:14]
	v_fma_f64 v[19:20], v[19:20], -0.5, v[27:28]
	v_add_f64 v[3:4], v[17:18], v[9:10]
	v_fma_f64 v[17:18], v[7:8], -0.5, v[29:30]
	v_add_f64 v[5:6], v[23:24], v[5:6]
	;; [unrolled: 2-line block ×4, first 2 shown]
	v_fma_f64 v[11:12], v[21:22], s[4:5], v[19:20]
	v_fma_f64 v[15:16], v[21:22], s[6:7], v[19:20]
	v_fma_f64 v[13:14], v[0:1], s[6:7], v[17:18]
	v_fma_f64 v[17:18], v[0:1], s[4:5], v[17:18]
	v_fma_f64 v[19:20], v[37:38], s[4:5], v[23:24]
	v_fma_f64 v[23:24], v[37:38], s[6:7], v[23:24]
	v_fma_f64 v[21:22], v[41:42], s[6:7], v[25:26]
	v_fma_f64 v[25:26], v[41:42], s[4:5], v[25:26]
	ds_write_b128 v87, v[3:6]
	ds_write_b128 v87, v[7:10] offset:1872
	ds_write_b128 v87, v[11:14] offset:3744
	;; [unrolled: 1-line block ×5, first 2 shown]
	s_waitcnt lgkmcnt(0)
	s_barrier
	ds_read_b128 v[4:7], v87
	v_lshlrev_b32_e32 v0, 4, v56
	s_addc_u32 s6, s13, 0
	v_sub_u32_e32 v14, 0, v0
                                        ; implicit-def: $vgpr0_vgpr1
                                        ; implicit-def: $vgpr8_vgpr9
                                        ; implicit-def: $vgpr10_vgpr11
                                        ; implicit-def: $vgpr12_vgpr13
	s_and_saveexec_b64 s[4:5], vcc
	s_xor_b64 s[4:5], exec, s[4:5]
	s_cbranch_execz .LBB0_17
; %bb.16:
	v_mov_b32_e32 v57, v2
	v_lshlrev_b64 v[0:1], 4, v[56:57]
	v_mov_b32_e32 v2, s6
	v_add_co_u32_e32 v0, vcc, s8, v0
	v_addc_co_u32_e32 v1, vcc, v2, v1, vcc
	global_load_dwordx4 v[15:18], v[0:1], off
	ds_read_b128 v[0:3], v14 offset:11232
	s_waitcnt lgkmcnt(0)
	v_add_f64 v[8:9], v[4:5], -v[0:1]
	v_add_f64 v[10:11], v[6:7], v[2:3]
	v_add_f64 v[2:3], v[6:7], -v[2:3]
	v_add_f64 v[0:1], v[4:5], v[0:1]
	v_mul_f64 v[6:7], v[8:9], 0.5
	v_mul_f64 v[4:5], v[10:11], 0.5
	;; [unrolled: 1-line block ×3, first 2 shown]
	s_waitcnt vmcnt(0)
	v_mul_f64 v[8:9], v[6:7], v[17:18]
	v_fma_f64 v[10:11], v[4:5], v[17:18], v[2:3]
	v_fma_f64 v[2:3], v[4:5], v[17:18], -v[2:3]
	v_fma_f64 v[12:13], v[0:1], 0.5, v[8:9]
	v_fma_f64 v[0:1], v[0:1], 0.5, -v[8:9]
	v_fma_f64 v[10:11], -v[15:16], v[6:7], v[10:11]
	v_fma_f64 v[2:3], -v[15:16], v[6:7], v[2:3]
	v_fma_f64 v[8:9], v[4:5], v[15:16], v[12:13]
	v_mov_b32_e32 v12, v56
	v_fma_f64 v[0:1], -v[4:5], v[15:16], v[0:1]
	v_mov_b32_e32 v13, v57
                                        ; implicit-def: $vgpr4_vgpr5
.LBB0_17:
	s_andn2_saveexec_b64 s[4:5], s[4:5]
	s_cbranch_execz .LBB0_19
; %bb.18:
	s_waitcnt lgkmcnt(0)
	v_add_f64 v[8:9], v[4:5], v[6:7]
	v_add_f64 v[0:1], v[4:5], -v[6:7]
	v_mov_b32_e32 v4, 0
	ds_read_b64 v[2:3], v4 offset:5624
	v_mov_b32_e32 v10, 0
	v_mov_b32_e32 v12, 0
	v_mov_b32_e32 v11, 0
	v_mov_b32_e32 v13, 0
	s_waitcnt lgkmcnt(0)
	v_xor_b32_e32 v3, 0x80000000, v3
	ds_write_b64 v4, v[2:3] offset:5624
	v_mov_b32_e32 v2, v10
	v_mov_b32_e32 v3, v11
.LBB0_19:
	s_or_b64 exec, exec, s[4:5]
	s_waitcnt lgkmcnt(0)
	v_lshlrev_b64 v[4:5], 4, v[12:13]
	v_mov_b32_e32 v6, s6
	v_add_co_u32_e32 v12, vcc, s8, v4
	v_addc_co_u32_e32 v13, vcc, v6, v5, vcc
	global_load_dwordx4 v[4:7], v[12:13], off offset:1872
	global_load_dwordx4 v[15:18], v[12:13], off offset:3744
	ds_write2_b64 v87, v[8:9], v[10:11] offset1:1
	ds_write_b128 v14, v[0:3] offset:11232
	ds_read_b128 v[0:3], v87 offset:1872
	ds_read_b128 v[8:11], v14 offset:9360
	s_waitcnt lgkmcnt(0)
	v_add_f64 v[12:13], v[0:1], -v[8:9]
	v_add_f64 v[19:20], v[2:3], v[10:11]
	v_add_f64 v[2:3], v[2:3], -v[10:11]
	v_add_f64 v[0:1], v[0:1], v[8:9]
	v_mul_f64 v[10:11], v[12:13], 0.5
	v_mul_f64 v[12:13], v[19:20], 0.5
	;; [unrolled: 1-line block ×3, first 2 shown]
	s_waitcnt vmcnt(1)
	v_mul_f64 v[8:9], v[10:11], v[6:7]
	v_fma_f64 v[19:20], v[12:13], v[6:7], v[2:3]
	v_fma_f64 v[2:3], v[12:13], v[6:7], -v[2:3]
	v_fma_f64 v[6:7], v[0:1], 0.5, v[8:9]
	v_fma_f64 v[0:1], v[0:1], 0.5, -v[8:9]
	v_fma_f64 v[8:9], -v[4:5], v[10:11], v[19:20]
	v_fma_f64 v[2:3], -v[4:5], v[10:11], v[2:3]
	v_fma_f64 v[6:7], v[12:13], v[4:5], v[6:7]
	v_fma_f64 v[0:1], -v[12:13], v[4:5], v[0:1]
	ds_write2_b64 v87, v[6:7], v[8:9] offset0:234 offset1:235
	ds_write_b128 v14, v[0:3] offset:9360
	ds_read_b128 v[0:3], v87 offset:3744
	ds_read_b128 v[4:7], v14 offset:7488
	s_waitcnt lgkmcnt(0)
	v_add_f64 v[8:9], v[0:1], -v[4:5]
	v_add_f64 v[10:11], v[2:3], v[6:7]
	v_add_f64 v[2:3], v[2:3], -v[6:7]
	v_add_f64 v[0:1], v[0:1], v[4:5]
	v_mul_f64 v[6:7], v[8:9], 0.5
	v_mul_f64 v[8:9], v[10:11], 0.5
	;; [unrolled: 1-line block ×3, first 2 shown]
	s_waitcnt vmcnt(0)
	v_mul_f64 v[4:5], v[6:7], v[17:18]
	v_fma_f64 v[10:11], v[8:9], v[17:18], v[2:3]
	v_fma_f64 v[2:3], v[8:9], v[17:18], -v[2:3]
	v_fma_f64 v[12:13], v[0:1], 0.5, v[4:5]
	v_fma_f64 v[0:1], v[0:1], 0.5, -v[4:5]
	v_fma_f64 v[4:5], -v[15:16], v[6:7], v[10:11]
	v_fma_f64 v[2:3], -v[15:16], v[6:7], v[2:3]
	v_fma_f64 v[6:7], v[8:9], v[15:16], v[12:13]
	v_fma_f64 v[0:1], -v[8:9], v[15:16], v[0:1]
	v_add_u32_e32 v8, 0x800, v87
	ds_write2_b64 v8, v[6:7], v[4:5] offset0:212 offset1:213
	ds_write_b128 v14, v[0:3] offset:7488
	s_waitcnt lgkmcnt(0)
	s_barrier
	s_and_saveexec_b64 s[4:5], s[0:1]
	s_cbranch_execz .LBB0_22
; %bb.20:
	v_mul_lo_u32 v2, s3, v54
	v_mul_lo_u32 v3, s2, v55
	v_mad_u64_u32 v[0:1], s[0:1], s2, v54, 0
	v_mov_b32_e32 v6, s11
	v_lshl_add_u32 v12, v56, 4, 0
	v_add3_u32 v1, v1, v3, v2
	v_lshlrev_b64 v[0:1], 4, v[0:1]
	v_mov_b32_e32 v57, 0
	v_add_co_u32_e32 v0, vcc, s10, v0
	v_addc_co_u32_e32 v8, vcc, v6, v1, vcc
	v_lshlrev_b64 v[6:7], 4, v[52:53]
	ds_read_b128 v[2:5], v12
	v_add_co_u32_e32 v1, vcc, v0, v6
	v_addc_co_u32_e32 v0, vcc, v8, v7, vcc
	v_lshlrev_b64 v[6:7], 4, v[56:57]
	s_movk_i32 s0, 0x74
	v_add_co_u32_e32 v10, vcc, v1, v6
	v_addc_co_u32_e32 v11, vcc, v0, v7, vcc
	ds_read_b128 v[6:9], v12 offset:1872
	s_waitcnt lgkmcnt(1)
	global_store_dwordx4 v[10:11], v[2:5], off
	s_nop 0
	v_add_u32_e32 v2, 0x75, v56
	v_mov_b32_e32 v3, v57
	v_lshlrev_b64 v[2:3], 4, v[2:3]
	v_add_co_u32_e32 v2, vcc, v1, v2
	v_addc_co_u32_e32 v3, vcc, v0, v3, vcc
	s_waitcnt lgkmcnt(0)
	global_store_dwordx4 v[2:3], v[6:9], off
	ds_read_b128 v[2:5], v12 offset:3744
	v_add_u32_e32 v6, 0xea, v56
	v_mov_b32_e32 v7, v57
	v_lshlrev_b64 v[6:7], 4, v[6:7]
	v_add_co_u32_e32 v10, vcc, v1, v6
	v_addc_co_u32_e32 v11, vcc, v0, v7, vcc
	ds_read_b128 v[6:9], v12 offset:5616
	s_waitcnt lgkmcnt(1)
	global_store_dwordx4 v[10:11], v[2:5], off
	s_nop 0
	v_add_u32_e32 v2, 0x15f, v56
	v_mov_b32_e32 v3, v57
	v_lshlrev_b64 v[2:3], 4, v[2:3]
	v_add_co_u32_e32 v2, vcc, v1, v2
	v_addc_co_u32_e32 v3, vcc, v0, v3, vcc
	s_waitcnt lgkmcnt(0)
	global_store_dwordx4 v[2:3], v[6:9], off
	ds_read_b128 v[2:5], v12 offset:7488
	v_add_u32_e32 v6, 0x1d4, v56
	v_mov_b32_e32 v7, v57
	v_lshlrev_b64 v[6:7], 4, v[6:7]
	v_add_co_u32_e32 v10, vcc, v1, v6
	v_addc_co_u32_e32 v11, vcc, v0, v7, vcc
	ds_read_b128 v[6:9], v12 offset:9360
	s_waitcnt lgkmcnt(1)
	global_store_dwordx4 v[10:11], v[2:5], off
	s_nop 0
	v_add_u32_e32 v2, 0x249, v56
	v_mov_b32_e32 v3, v57
	v_lshlrev_b64 v[2:3], 4, v[2:3]
	v_add_co_u32_e32 v2, vcc, v1, v2
	v_addc_co_u32_e32 v3, vcc, v0, v3, vcc
	v_cmp_eq_u32_e32 vcc, s0, v56
	s_waitcnt lgkmcnt(0)
	global_store_dwordx4 v[2:3], v[6:9], off
	s_and_b64 exec, exec, vcc
	s_cbranch_execz .LBB0_22
; %bb.21:
	ds_read_b128 v[2:5], v57 offset:11232
	v_add_co_u32_e32 v6, vcc, 0x2000, v1
	v_addc_co_u32_e32 v7, vcc, 0, v0, vcc
	s_waitcnt lgkmcnt(0)
	global_store_dwordx4 v[6:7], v[2:5], off offset:3040
.LBB0_22:
	s_endpgm
	.section	.rodata,"a",@progbits
	.p2align	6, 0x0
	.amdhsa_kernel fft_rtc_back_len702_factors_13_3_6_3_wgs_117_tpt_117_halfLds_dp_op_CI_CI_unitstride_sbrr_R2C_dirReg
		.amdhsa_group_segment_fixed_size 0
		.amdhsa_private_segment_fixed_size 0
		.amdhsa_kernarg_size 104
		.amdhsa_user_sgpr_count 6
		.amdhsa_user_sgpr_private_segment_buffer 1
		.amdhsa_user_sgpr_dispatch_ptr 0
		.amdhsa_user_sgpr_queue_ptr 0
		.amdhsa_user_sgpr_kernarg_segment_ptr 1
		.amdhsa_user_sgpr_dispatch_id 0
		.amdhsa_user_sgpr_flat_scratch_init 0
		.amdhsa_user_sgpr_private_segment_size 0
		.amdhsa_uses_dynamic_stack 0
		.amdhsa_system_sgpr_private_segment_wavefront_offset 0
		.amdhsa_system_sgpr_workgroup_id_x 1
		.amdhsa_system_sgpr_workgroup_id_y 0
		.amdhsa_system_sgpr_workgroup_id_z 0
		.amdhsa_system_sgpr_workgroup_info 0
		.amdhsa_system_vgpr_workitem_id 0
		.amdhsa_next_free_vgpr 126
		.amdhsa_next_free_sgpr 44
		.amdhsa_reserve_vcc 1
		.amdhsa_reserve_flat_scratch 0
		.amdhsa_float_round_mode_32 0
		.amdhsa_float_round_mode_16_64 0
		.amdhsa_float_denorm_mode_32 3
		.amdhsa_float_denorm_mode_16_64 3
		.amdhsa_dx10_clamp 1
		.amdhsa_ieee_mode 1
		.amdhsa_fp16_overflow 0
		.amdhsa_exception_fp_ieee_invalid_op 0
		.amdhsa_exception_fp_denorm_src 0
		.amdhsa_exception_fp_ieee_div_zero 0
		.amdhsa_exception_fp_ieee_overflow 0
		.amdhsa_exception_fp_ieee_underflow 0
		.amdhsa_exception_fp_ieee_inexact 0
		.amdhsa_exception_int_div_zero 0
	.end_amdhsa_kernel
	.text
.Lfunc_end0:
	.size	fft_rtc_back_len702_factors_13_3_6_3_wgs_117_tpt_117_halfLds_dp_op_CI_CI_unitstride_sbrr_R2C_dirReg, .Lfunc_end0-fft_rtc_back_len702_factors_13_3_6_3_wgs_117_tpt_117_halfLds_dp_op_CI_CI_unitstride_sbrr_R2C_dirReg
                                        ; -- End function
	.section	.AMDGPU.csdata,"",@progbits
; Kernel info:
; codeLenInByte = 8380
; NumSgprs: 48
; NumVgprs: 126
; ScratchSize: 0
; MemoryBound: 0
; FloatMode: 240
; IeeeMode: 1
; LDSByteSize: 0 bytes/workgroup (compile time only)
; SGPRBlocks: 5
; VGPRBlocks: 31
; NumSGPRsForWavesPerEU: 48
; NumVGPRsForWavesPerEU: 126
; Occupancy: 2
; WaveLimiterHint : 1
; COMPUTE_PGM_RSRC2:SCRATCH_EN: 0
; COMPUTE_PGM_RSRC2:USER_SGPR: 6
; COMPUTE_PGM_RSRC2:TRAP_HANDLER: 0
; COMPUTE_PGM_RSRC2:TGID_X_EN: 1
; COMPUTE_PGM_RSRC2:TGID_Y_EN: 0
; COMPUTE_PGM_RSRC2:TGID_Z_EN: 0
; COMPUTE_PGM_RSRC2:TIDIG_COMP_CNT: 0
	.type	__hip_cuid_db3b71f39bf8b2f9,@object ; @__hip_cuid_db3b71f39bf8b2f9
	.section	.bss,"aw",@nobits
	.globl	__hip_cuid_db3b71f39bf8b2f9
__hip_cuid_db3b71f39bf8b2f9:
	.byte	0                               ; 0x0
	.size	__hip_cuid_db3b71f39bf8b2f9, 1

	.ident	"AMD clang version 19.0.0git (https://github.com/RadeonOpenCompute/llvm-project roc-6.4.0 25133 c7fe45cf4b819c5991fe208aaa96edf142730f1d)"
	.section	".note.GNU-stack","",@progbits
	.addrsig
	.addrsig_sym __hip_cuid_db3b71f39bf8b2f9
	.amdgpu_metadata
---
amdhsa.kernels:
  - .args:
      - .actual_access:  read_only
        .address_space:  global
        .offset:         0
        .size:           8
        .value_kind:     global_buffer
      - .offset:         8
        .size:           8
        .value_kind:     by_value
      - .actual_access:  read_only
        .address_space:  global
        .offset:         16
        .size:           8
        .value_kind:     global_buffer
      - .actual_access:  read_only
        .address_space:  global
        .offset:         24
        .size:           8
        .value_kind:     global_buffer
      - .actual_access:  read_only
        .address_space:  global
        .offset:         32
        .size:           8
        .value_kind:     global_buffer
      - .offset:         40
        .size:           8
        .value_kind:     by_value
      - .actual_access:  read_only
        .address_space:  global
        .offset:         48
        .size:           8
        .value_kind:     global_buffer
      - .actual_access:  read_only
        .address_space:  global
        .offset:         56
        .size:           8
        .value_kind:     global_buffer
      - .offset:         64
        .size:           4
        .value_kind:     by_value
      - .actual_access:  read_only
        .address_space:  global
        .offset:         72
        .size:           8
        .value_kind:     global_buffer
      - .actual_access:  read_only
        .address_space:  global
        .offset:         80
        .size:           8
        .value_kind:     global_buffer
      - .actual_access:  read_only
        .address_space:  global
        .offset:         88
        .size:           8
        .value_kind:     global_buffer
      - .actual_access:  write_only
        .address_space:  global
        .offset:         96
        .size:           8
        .value_kind:     global_buffer
    .group_segment_fixed_size: 0
    .kernarg_segment_align: 8
    .kernarg_segment_size: 104
    .language:       OpenCL C
    .language_version:
      - 2
      - 0
    .max_flat_workgroup_size: 117
    .name:           fft_rtc_back_len702_factors_13_3_6_3_wgs_117_tpt_117_halfLds_dp_op_CI_CI_unitstride_sbrr_R2C_dirReg
    .private_segment_fixed_size: 0
    .sgpr_count:     48
    .sgpr_spill_count: 0
    .symbol:         fft_rtc_back_len702_factors_13_3_6_3_wgs_117_tpt_117_halfLds_dp_op_CI_CI_unitstride_sbrr_R2C_dirReg.kd
    .uniform_work_group_size: 1
    .uses_dynamic_stack: false
    .vgpr_count:     126
    .vgpr_spill_count: 0
    .wavefront_size: 64
amdhsa.target:   amdgcn-amd-amdhsa--gfx906
amdhsa.version:
  - 1
  - 2
...

	.end_amdgpu_metadata
